;; amdgpu-corpus repo=ROCm/rocFFT kind=compiled arch=gfx1030 opt=O3
	.text
	.amdgcn_target "amdgcn-amd-amdhsa--gfx1030"
	.amdhsa_code_object_version 6
	.protected	fft_rtc_back_len135_factors_5_3_3_3_wgs_126_tpt_9_halfLds_sp_ip_CI_sbrr_dirReg ; -- Begin function fft_rtc_back_len135_factors_5_3_3_3_wgs_126_tpt_9_halfLds_sp_ip_CI_sbrr_dirReg
	.globl	fft_rtc_back_len135_factors_5_3_3_3_wgs_126_tpt_9_halfLds_sp_ip_CI_sbrr_dirReg
	.p2align	8
	.type	fft_rtc_back_len135_factors_5_3_3_3_wgs_126_tpt_9_halfLds_sp_ip_CI_sbrr_dirReg,@function
fft_rtc_back_len135_factors_5_3_3_3_wgs_126_tpt_9_halfLds_sp_ip_CI_sbrr_dirReg: ; @fft_rtc_back_len135_factors_5_3_3_3_wgs_126_tpt_9_halfLds_sp_ip_CI_sbrr_dirReg
; %bb.0:
	s_clause 0x1
	s_load_dwordx2 s[14:15], s[4:5], 0x18
	s_load_dwordx4 s[8:11], s[4:5], 0x0
	v_mul_u32_u24_e32 v1, 0x1c72, v0
	v_mov_b32_e32 v6, 0
	v_mov_b32_e32 v4, 0
	v_mov_b32_e32 v5, 0
	s_load_dwordx2 s[12:13], s[4:5], 0x50
	s_waitcnt lgkmcnt(0)
	s_load_dwordx2 s[2:3], s[14:15], 0x0
	v_lshrrev_b32_e32 v1, 16, v1
	v_cmp_lt_u64_e64 s0, s[10:11], 2
	v_mad_u64_u32 v[2:3], null, s6, 14, v[1:2]
	v_mov_b32_e32 v3, v6
	s_and_b32 vcc_lo, exec_lo, s0
	v_mov_b32_e32 v11, v3
	v_mov_b32_e32 v10, v2
	s_cbranch_vccnz .LBB0_8
; %bb.1:
	s_load_dwordx2 s[0:1], s[4:5], 0x10
	v_mov_b32_e32 v4, 0
	v_mov_b32_e32 v9, v3
	s_add_u32 s6, s14, 8
	v_mov_b32_e32 v5, 0
	v_mov_b32_e32 v8, v2
	s_addc_u32 s7, s15, 0
	s_mov_b64 s[18:19], 1
	s_waitcnt lgkmcnt(0)
	s_add_u32 s16, s0, 8
	s_addc_u32 s17, s1, 0
.LBB0_2:                                ; =>This Inner Loop Header: Depth=1
	s_load_dwordx2 s[20:21], s[16:17], 0x0
                                        ; implicit-def: $vgpr10_vgpr11
	s_mov_b32 s0, exec_lo
	s_waitcnt lgkmcnt(0)
	v_or_b32_e32 v7, s21, v9
	v_cmpx_ne_u64_e32 0, v[6:7]
	s_xor_b32 s1, exec_lo, s0
	s_cbranch_execz .LBB0_4
; %bb.3:                                ;   in Loop: Header=BB0_2 Depth=1
	v_cvt_f32_u32_e32 v1, s20
	v_cvt_f32_u32_e32 v3, s21
	s_sub_u32 s0, 0, s20
	s_subb_u32 s22, 0, s21
	v_fmac_f32_e32 v1, 0x4f800000, v3
	v_rcp_f32_e32 v1, v1
	v_mul_f32_e32 v1, 0x5f7ffffc, v1
	v_mul_f32_e32 v3, 0x2f800000, v1
	v_trunc_f32_e32 v3, v3
	v_fmac_f32_e32 v1, 0xcf800000, v3
	v_cvt_u32_f32_e32 v3, v3
	v_cvt_u32_f32_e32 v1, v1
	v_mul_lo_u32 v7, s0, v3
	v_mul_hi_u32 v10, s0, v1
	v_mul_lo_u32 v11, s22, v1
	v_add_nc_u32_e32 v7, v10, v7
	v_mul_lo_u32 v10, s0, v1
	v_add_nc_u32_e32 v7, v7, v11
	v_mul_hi_u32 v11, v1, v10
	v_mul_lo_u32 v12, v1, v7
	v_mul_hi_u32 v13, v1, v7
	v_mul_hi_u32 v14, v3, v10
	v_mul_lo_u32 v10, v3, v10
	v_mul_hi_u32 v15, v3, v7
	v_mul_lo_u32 v7, v3, v7
	v_add_co_u32 v11, vcc_lo, v11, v12
	v_add_co_ci_u32_e32 v12, vcc_lo, 0, v13, vcc_lo
	v_add_co_u32 v10, vcc_lo, v11, v10
	v_add_co_ci_u32_e32 v10, vcc_lo, v12, v14, vcc_lo
	v_add_co_ci_u32_e32 v11, vcc_lo, 0, v15, vcc_lo
	v_add_co_u32 v7, vcc_lo, v10, v7
	v_add_co_ci_u32_e32 v10, vcc_lo, 0, v11, vcc_lo
	v_add_co_u32 v1, vcc_lo, v1, v7
	v_add_co_ci_u32_e32 v3, vcc_lo, v3, v10, vcc_lo
	v_mul_hi_u32 v7, s0, v1
	v_mul_lo_u32 v11, s22, v1
	v_mul_lo_u32 v10, s0, v3
	v_add_nc_u32_e32 v7, v7, v10
	v_mul_lo_u32 v10, s0, v1
	v_add_nc_u32_e32 v7, v7, v11
	v_mul_hi_u32 v11, v1, v10
	v_mul_lo_u32 v12, v1, v7
	v_mul_hi_u32 v13, v1, v7
	v_mul_hi_u32 v14, v3, v10
	v_mul_lo_u32 v10, v3, v10
	v_mul_hi_u32 v15, v3, v7
	v_mul_lo_u32 v7, v3, v7
	v_add_co_u32 v11, vcc_lo, v11, v12
	v_add_co_ci_u32_e32 v12, vcc_lo, 0, v13, vcc_lo
	v_add_co_u32 v10, vcc_lo, v11, v10
	v_add_co_ci_u32_e32 v10, vcc_lo, v12, v14, vcc_lo
	v_add_co_ci_u32_e32 v11, vcc_lo, 0, v15, vcc_lo
	v_add_co_u32 v7, vcc_lo, v10, v7
	v_add_co_ci_u32_e32 v10, vcc_lo, 0, v11, vcc_lo
	v_add_co_u32 v1, vcc_lo, v1, v7
	v_add_co_ci_u32_e32 v3, vcc_lo, v3, v10, vcc_lo
	v_mul_hi_u32 v7, v8, v1
	v_mad_u64_u32 v[12:13], null, v9, v1, 0
	v_mad_u64_u32 v[10:11], null, v8, v3, 0
	v_mad_u64_u32 v[14:15], null, v9, v3, 0
	v_add_co_u32 v1, vcc_lo, v7, v10
	v_add_co_ci_u32_e32 v3, vcc_lo, 0, v11, vcc_lo
	v_add_co_u32 v1, vcc_lo, v1, v12
	v_add_co_ci_u32_e32 v1, vcc_lo, v3, v13, vcc_lo
	v_add_co_ci_u32_e32 v3, vcc_lo, 0, v15, vcc_lo
	v_add_co_u32 v1, vcc_lo, v1, v14
	v_add_co_ci_u32_e32 v3, vcc_lo, 0, v3, vcc_lo
	v_mul_lo_u32 v7, s21, v1
	v_mad_u64_u32 v[10:11], null, s20, v1, 0
	v_mul_lo_u32 v12, s20, v3
	v_sub_co_u32 v10, vcc_lo, v8, v10
	v_add3_u32 v7, v11, v12, v7
	v_sub_nc_u32_e32 v11, v9, v7
	v_subrev_co_ci_u32_e64 v11, s0, s21, v11, vcc_lo
	v_add_co_u32 v12, s0, v1, 2
	v_add_co_ci_u32_e64 v13, s0, 0, v3, s0
	v_sub_co_u32 v14, s0, v10, s20
	v_sub_co_ci_u32_e32 v7, vcc_lo, v9, v7, vcc_lo
	v_subrev_co_ci_u32_e64 v11, s0, 0, v11, s0
	v_cmp_le_u32_e32 vcc_lo, s20, v14
	v_cmp_eq_u32_e64 s0, s21, v7
	v_cndmask_b32_e64 v14, 0, -1, vcc_lo
	v_cmp_le_u32_e32 vcc_lo, s21, v11
	v_cndmask_b32_e64 v15, 0, -1, vcc_lo
	v_cmp_le_u32_e32 vcc_lo, s20, v10
	;; [unrolled: 2-line block ×3, first 2 shown]
	v_cndmask_b32_e64 v16, 0, -1, vcc_lo
	v_cmp_eq_u32_e32 vcc_lo, s21, v11
	v_cndmask_b32_e64 v7, v16, v10, s0
	v_cndmask_b32_e32 v11, v15, v14, vcc_lo
	v_add_co_u32 v14, vcc_lo, v1, 1
	v_add_co_ci_u32_e32 v15, vcc_lo, 0, v3, vcc_lo
	v_cmp_ne_u32_e32 vcc_lo, 0, v11
	v_cndmask_b32_e32 v10, v15, v13, vcc_lo
	v_cndmask_b32_e32 v12, v14, v12, vcc_lo
	v_cmp_ne_u32_e32 vcc_lo, 0, v7
	v_cndmask_b32_e32 v11, v3, v10, vcc_lo
	v_cndmask_b32_e32 v10, v1, v12, vcc_lo
.LBB0_4:                                ;   in Loop: Header=BB0_2 Depth=1
	s_andn2_saveexec_b32 s0, s1
	s_cbranch_execz .LBB0_6
; %bb.5:                                ;   in Loop: Header=BB0_2 Depth=1
	v_cvt_f32_u32_e32 v1, s20
	s_sub_i32 s1, 0, s20
	v_mov_b32_e32 v11, v6
	v_rcp_iflag_f32_e32 v1, v1
	v_mul_f32_e32 v1, 0x4f7ffffe, v1
	v_cvt_u32_f32_e32 v1, v1
	v_mul_lo_u32 v3, s1, v1
	v_mul_hi_u32 v3, v1, v3
	v_add_nc_u32_e32 v1, v1, v3
	v_mul_hi_u32 v1, v8, v1
	v_mul_lo_u32 v3, v1, s20
	v_add_nc_u32_e32 v7, 1, v1
	v_sub_nc_u32_e32 v3, v8, v3
	v_subrev_nc_u32_e32 v10, s20, v3
	v_cmp_le_u32_e32 vcc_lo, s20, v3
	v_cndmask_b32_e32 v3, v3, v10, vcc_lo
	v_cndmask_b32_e32 v1, v1, v7, vcc_lo
	v_cmp_le_u32_e32 vcc_lo, s20, v3
	v_add_nc_u32_e32 v7, 1, v1
	v_cndmask_b32_e32 v10, v1, v7, vcc_lo
.LBB0_6:                                ;   in Loop: Header=BB0_2 Depth=1
	s_or_b32 exec_lo, exec_lo, s0
	s_load_dwordx2 s[0:1], s[6:7], 0x0
	v_mul_lo_u32 v1, v11, s20
	v_mul_lo_u32 v3, v10, s21
	v_mad_u64_u32 v[12:13], null, v10, s20, 0
	s_add_u32 s18, s18, 1
	s_addc_u32 s19, s19, 0
	s_add_u32 s6, s6, 8
	s_addc_u32 s7, s7, 0
	s_add_u32 s16, s16, 8
	s_addc_u32 s17, s17, 0
	v_add3_u32 v1, v13, v3, v1
	v_sub_co_u32 v3, vcc_lo, v8, v12
	v_sub_co_ci_u32_e32 v1, vcc_lo, v9, v1, vcc_lo
	s_waitcnt lgkmcnt(0)
	v_mul_lo_u32 v7, s1, v3
	v_mul_lo_u32 v1, s0, v1
	v_mad_u64_u32 v[4:5], null, s0, v3, v[4:5]
	v_cmp_ge_u64_e64 s0, s[18:19], s[10:11]
	s_and_b32 vcc_lo, exec_lo, s0
	v_add3_u32 v5, v7, v5, v1
	s_cbranch_vccnz .LBB0_8
; %bb.7:                                ;   in Loop: Header=BB0_2 Depth=1
	v_mov_b32_e32 v8, v10
	v_mov_b32_e32 v9, v11
	s_branch .LBB0_2
.LBB0_8:
	s_lshl_b64 s[0:1], s[10:11], 3
	v_mul_hi_u32 v1, 0x1c71c71d, v0
	s_add_u32 s0, s14, s0
	s_addc_u32 s1, s15, s1
	s_load_dwordx2 s[4:5], s[4:5], 0x20
	s_load_dwordx2 s[0:1], s[0:1], 0x0
                                        ; implicit-def: $vgpr42
                                        ; implicit-def: $vgpr43
                                        ; implicit-def: $vgpr44
                                        ; implicit-def: $vgpr45
	v_mul_u32_u24_e32 v1, 9, v1
	v_sub_nc_u32_e32 v36, v0, v1
	v_add_nc_u32_e32 v37, 9, v36
	v_add_nc_u32_e32 v33, 18, v36
	;; [unrolled: 1-line block ×4, first 2 shown]
	s_waitcnt lgkmcnt(0)
	v_cmp_gt_u64_e32 vcc_lo, s[4:5], v[10:11]
	v_mul_lo_u32 v3, s0, v11
	v_mul_lo_u32 v6, s1, v10
	v_mad_u64_u32 v[0:1], null, s0, v10, v[4:5]
	v_cmp_le_u64_e64 s0, s[4:5], v[10:11]
	v_add3_u32 v1, v6, v1, v3
	s_and_saveexec_b32 s1, s0
	s_xor_b32 s0, exec_lo, s1
; %bb.9:
	v_add_nc_u32_e32 v42, 9, v36
	v_add_nc_u32_e32 v43, 18, v36
	;; [unrolled: 1-line block ×4, first 2 shown]
; %bb.10:
	s_or_saveexec_b32 s1, s0
	v_lshlrev_b64 v[0:1], 3, v[0:1]
	v_add_nc_u32_e32 v39, 54, v36
	v_add_nc_u32_e32 v40, 0x5a, v36
	;; [unrolled: 1-line block ×4, first 2 shown]
                                        ; implicit-def: $vgpr16
                                        ; implicit-def: $vgpr10
                                        ; implicit-def: $vgpr14
                                        ; implicit-def: $vgpr12
                                        ; implicit-def: $vgpr8
                                        ; implicit-def: $vgpr30
                                        ; implicit-def: $vgpr28
                                        ; implicit-def: $vgpr20
                                        ; implicit-def: $vgpr18
                                        ; implicit-def: $vgpr6
                                        ; implicit-def: $vgpr32
                                        ; implicit-def: $vgpr22
                                        ; implicit-def: $vgpr26
                                        ; implicit-def: $vgpr24
                                        ; implicit-def: $vgpr4
	s_xor_b32 exec_lo, exec_lo, s1
	s_cbranch_execz .LBB0_12
; %bb.11:
	v_mad_u64_u32 v[3:4], null, s2, v36, 0
	v_mad_u64_u32 v[5:6], null, s2, v34, 0
	;; [unrolled: 1-line block ×3, first 2 shown]
	v_add_nc_u32_e32 v15, 0x51, v36
	v_add_nc_u32_e32 v16, 0x6c, v36
	v_add_co_u32 v49, s0, s12, v0
	v_mad_u64_u32 v[9:10], null, s3, v36, v[4:5]
	v_mad_u64_u32 v[10:11], null, s2, v15, 0
	v_mov_b32_e32 v4, v8
	v_mad_u64_u32 v[12:13], null, s3, v34, v[6:7]
	v_add_co_ci_u32_e64 v50, s0, s13, v1, s0
	v_mad_u64_u32 v[13:14], null, s3, v39, v[4:5]
	v_mov_b32_e32 v4, v9
	v_mov_b32_e32 v9, v11
	;; [unrolled: 1-line block ×3, first 2 shown]
	v_add_nc_u32_e32 v27, 63, v36
	v_mad_u64_u32 v[29:30], null, s2, v33, 0
	v_mad_u64_u32 v[11:12], null, s3, v15, v[9:10]
	v_mov_b32_e32 v8, v13
	v_mad_u64_u32 v[12:13], null, s2, v16, 0
	v_mad_u64_u32 v[14:15], null, s2, v37, 0
	v_lshlrev_b64 v[3:4], 3, v[3:4]
	v_lshlrev_b64 v[10:11], 3, v[10:11]
	;; [unrolled: 1-line block ×4, first 2 shown]
	v_mov_b32_e32 v9, v13
	v_mad_u64_u32 v[19:20], null, s2, v27, 0
	v_add_co_u32 v3, s0, v49, v3
	v_mov_b32_e32 v13, v15
	v_mad_u64_u32 v[15:16], null, s3, v16, v[9:10]
	v_add_co_ci_u32_e64 v4, s0, v50, v4, s0
	v_add_co_u32 v5, s0, v49, v5
	v_add_co_ci_u32_e64 v6, s0, v50, v6, s0
	v_mad_u64_u32 v[16:17], null, s3, v37, v[13:14]
	v_add_co_u32 v7, s0, v49, v7
	v_mad_u64_u32 v[17:18], null, s2, v35, 0
	v_add_co_ci_u32_e64 v8, s0, v50, v8, s0
	v_mov_b32_e32 v13, v15
	v_add_co_u32 v9, s0, v49, v10
	v_add_co_ci_u32_e64 v10, s0, v50, v11, s0
	v_mov_b32_e32 v15, v16
	s_clause 0x3
	global_load_dwordx2 v[3:4], v[3:4], off
	global_load_dwordx2 v[23:24], v[5:6], off
	;; [unrolled: 1-line block ×4, first 2 shown]
	v_lshlrev_b64 v[6:7], 3, v[12:13]
	v_mov_b32_e32 v5, v18
	v_mov_b32_e32 v8, v20
	v_lshlrev_b64 v[9:10], 3, v[14:15]
	v_mad_u64_u32 v[42:43], null, s2, v41, 0
	v_mad_u64_u32 v[11:12], null, s3, v35, v[5:6]
	v_add_co_u32 v5, s0, v49, v6
	v_mad_u64_u32 v[12:13], null, s3, v27, v[8:9]
	v_mad_u64_u32 v[13:14], null, s2, v40, 0
	v_mov_b32_e32 v18, v11
	v_add_co_ci_u32_e64 v6, s0, v50, v7, s0
	v_add_co_u32 v7, s0, v49, v9
	v_add_co_ci_u32_e64 v8, s0, v50, v10, s0
	v_lshlrev_b64 v[10:11], 3, v[17:18]
	v_mov_b32_e32 v20, v12
	v_mov_b32_e32 v9, v14
	v_add_nc_u32_e32 v18, 0x75, v36
	v_add_nc_u32_e32 v44, 0x48, v36
	v_lshlrev_b64 v[14:15], 3, v[19:20]
	v_mad_u64_u32 v[16:17], null, s3, v40, v[9:10]
	v_mad_u64_u32 v[27:28], null, s2, v18, 0
	v_add_co_u32 v9, s0, v49, v10
	v_add_co_ci_u32_e64 v10, s0, v50, v11, s0
	v_add_co_u32 v11, s0, v49, v14
	v_add_co_ci_u32_e64 v12, s0, v50, v15, s0
	v_mov_b32_e32 v15, v28
	v_mov_b32_e32 v14, v16
	v_mad_u64_u32 v[15:16], null, s3, v18, v[15:16]
	s_clause 0x3
	global_load_dwordx2 v[31:32], v[5:6], off
	global_load_dwordx2 v[5:6], v[7:8], off
	;; [unrolled: 1-line block ×4, first 2 shown]
	v_lshlrev_b64 v[8:9], 3, v[13:14]
	v_mov_b32_e32 v7, v30
	v_mov_b32_e32 v28, v15
	v_mad_u64_u32 v[10:11], null, s3, v33, v[7:8]
	v_mad_u64_u32 v[11:12], null, s2, v44, 0
	v_mov_b32_e32 v7, v43
	v_add_co_u32 v8, s0, v49, v8
	v_lshlrev_b64 v[13:14], 3, v[27:28]
	v_mov_b32_e32 v30, v10
	v_add_nc_u32_e32 v10, 0x7e, v36
	v_mad_u64_u32 v[15:16], null, s3, v41, v[7:8]
	v_mov_b32_e32 v7, v12
	v_mad_u64_u32 v[27:28], null, s2, v38, 0
	v_add_co_ci_u32_e64 v9, s0, v50, v9, s0
	v_mad_u64_u32 v[44:45], null, s3, v44, v[7:8]
	v_mad_u64_u32 v[45:46], null, s2, v10, 0
	v_mov_b32_e32 v7, v28
	v_lshlrev_b64 v[28:29], 3, v[29:30]
	v_add_co_u32 v13, s0, v49, v13
	v_mov_b32_e32 v43, v15
	v_mad_u64_u32 v[15:16], null, s3, v38, v[7:8]
	v_mov_b32_e32 v7, v46
	v_add_co_ci_u32_e64 v14, s0, v50, v14, s0
	v_add_co_u32 v47, s0, v49, v28
	v_mov_b32_e32 v12, v44
	v_add_co_ci_u32_e64 v48, s0, v50, v29, s0
	v_lshlrev_b64 v[29:30], 3, v[42:43]
	v_mad_u64_u32 v[42:43], null, s3, v10, v[7:8]
	v_lshlrev_b64 v[10:11], 3, v[11:12]
	v_mov_b32_e32 v28, v15
	v_add_co_u32 v15, s0, v49, v29
	v_add_co_ci_u32_e64 v16, s0, v50, v30, s0
	v_mov_b32_e32 v46, v42
	v_lshlrev_b64 v[27:28], 3, v[27:28]
	v_add_co_u32 v42, s0, v49, v10
	v_add_co_ci_u32_e64 v43, s0, v50, v11, s0
	v_lshlrev_b64 v[10:11], 3, v[45:46]
	v_add_co_u32 v44, s0, v49, v27
	v_add_co_ci_u32_e64 v45, s0, v50, v28, s0
	v_add_co_u32 v49, s0, v49, v10
	v_add_co_ci_u32_e64 v50, s0, v50, v11, s0
	s_clause 0x6
	global_load_dwordx2 v[27:28], v[8:9], off
	global_load_dwordx2 v[29:30], v[13:14], off
	;; [unrolled: 1-line block ×7, first 2 shown]
	v_mov_b32_e32 v45, v35
	v_mov_b32_e32 v44, v34
	;; [unrolled: 1-line block ×4, first 2 shown]
.LBB0_12:
	s_or_b32 exec_lo, exec_lo, s1
	v_lshrrev_b32_e32 v46, 1, v2
	s_waitcnt vmcnt(13)
	v_add_f32_e32 v47, v23, v3
	s_waitcnt vmcnt(11)
	v_add_f32_e32 v48, v21, v25
	;; [unrolled: 2-line block ×3, first 2 shown]
	v_sub_f32_e32 v49, v24, v32
	v_mul_hi_u32 v46, 0x92492493, v46
	v_sub_f32_e32 v50, v26, v22
	v_sub_f32_e32 v51, v23, v25
	;; [unrolled: 1-line block ×5, first 2 shown]
	v_add_f32_e32 v47, v25, v47
	v_fma_f32 v48, -0.5, v48, v3
	v_lshrrev_b32_e32 v46, 2, v46
	v_fmac_f32_e32 v3, -0.5, v53
	v_add_f32_e32 v56, v24, v4
	v_add_f32_e32 v57, v22, v26
	;; [unrolled: 1-line block ×3, first 2 shown]
	v_mul_lo_u32 v46, v46, 14
	v_add_f32_e32 v52, v55, v54
	v_fmamk_f32 v53, v49, 0xbf737871, v48
	v_add_f32_e32 v47, v21, v47
	v_fmac_f32_e32 v48, 0x3f737871, v49
	v_fmamk_f32 v54, v50, 0x3f737871, v3
	v_fmac_f32_e32 v3, 0xbf737871, v50
	v_fmac_f32_e32 v53, 0xbf167918, v50
	v_sub_nc_u32_e32 v2, v2, v46
	v_add_f32_e32 v46, v31, v47
	v_fmac_f32_e32 v48, 0x3f167918, v50
	v_fmac_f32_e32 v54, 0xbf167918, v49
	v_add_f32_e32 v47, v26, v56
	v_fma_f32 v50, -0.5, v57, v4
	v_sub_f32_e32 v23, v23, v31
	v_fmac_f32_e32 v3, 0x3f167918, v49
	v_add_f32_e32 v49, v32, v24
	v_fmac_f32_e32 v53, 0x3e9e377a, v51
	v_fmac_f32_e32 v48, 0x3e9e377a, v51
	v_add_f32_e32 v31, v22, v47
	v_fmamk_f32 v47, v23, 0x3f737871, v50
	v_sub_f32_e32 v21, v25, v21
	v_sub_f32_e32 v25, v24, v26
	;; [unrolled: 1-line block ×3, first 2 shown]
	v_fmac_f32_e32 v4, -0.5, v49
	v_fmac_f32_e32 v50, 0xbf737871, v23
	v_sub_f32_e32 v24, v26, v24
	v_sub_f32_e32 v22, v22, v32
	s_waitcnt vmcnt(6)
	v_add_f32_e32 v26, v27, v19
	v_add_f32_e32 v49, v32, v31
	v_fmac_f32_e32 v47, 0x3f167918, v21
	v_add_f32_e32 v25, v51, v25
	v_fmamk_f32 v51, v21, 0xbf737871, v4
	v_fmac_f32_e32 v50, 0xbf167918, v21
	v_add_f32_e32 v22, v22, v24
	v_add_f32_e32 v24, v17, v5
	v_fma_f32 v26, -0.5, v26, v5
	s_waitcnt vmcnt(5)
	v_sub_f32_e32 v31, v18, v30
	v_fmac_f32_e32 v4, 0x3f737871, v21
	v_add_f32_e32 v55, v29, v17
	v_fmac_f32_e32 v54, 0x3e9e377a, v52
	v_fmac_f32_e32 v3, 0x3e9e377a, v52
	;; [unrolled: 1-line block ×5, first 2 shown]
	v_add_f32_e32 v21, v19, v24
	v_fmamk_f32 v25, v31, 0xbf737871, v26
	v_sub_f32_e32 v24, v20, v28
	v_sub_f32_e32 v32, v17, v19
	;; [unrolled: 1-line block ×3, first 2 shown]
	v_fmac_f32_e32 v4, 0xbf167918, v23
	v_fmac_f32_e32 v5, -0.5, v55
	v_fmac_f32_e32 v26, 0x3f737871, v31
	v_add_f32_e32 v55, v18, v6
	v_fmac_f32_e32 v51, 0x3e9e377a, v22
	v_fmac_f32_e32 v25, 0xbf167918, v24
	v_add_f32_e32 v23, v52, v32
	v_fmac_f32_e32 v4, 0x3e9e377a, v22
	v_fmamk_f32 v22, v24, 0x3f737871, v5
	v_sub_f32_e32 v32, v19, v17
	v_sub_f32_e32 v52, v27, v29
	v_fmac_f32_e32 v26, 0x3f167918, v24
	v_add_f32_e32 v56, v28, v20
	v_fmac_f32_e32 v5, 0xbf737871, v24
	v_add_f32_e32 v24, v20, v55
	v_add_f32_e32 v21, v27, v21
	v_fmac_f32_e32 v25, 0x3e9e377a, v23
	v_add_f32_e32 v32, v52, v32
	v_fma_f32 v52, -0.5, v56, v6
	v_sub_f32_e32 v17, v17, v29
	v_fmac_f32_e32 v26, 0x3e9e377a, v23
	v_add_f32_e32 v23, v28, v24
	v_add_f32_e32 v24, v30, v18
	v_add_f32_e32 v21, v29, v21
	v_fmac_f32_e32 v22, 0xbf167918, v31
	v_fmac_f32_e32 v5, 0x3f167918, v31
	v_fmamk_f32 v55, v17, 0x3f737871, v52
	v_sub_f32_e32 v19, v19, v27
	v_sub_f32_e32 v27, v18, v20
	;; [unrolled: 1-line block ×3, first 2 shown]
	v_fmac_f32_e32 v6, -0.5, v24
	v_fmac_f32_e32 v52, 0xbf737871, v17
	v_sub_f32_e32 v18, v20, v18
	v_sub_f32_e32 v20, v28, v30
	s_waitcnt vmcnt(1)
	v_add_f32_e32 v24, v9, v13
	v_fmac_f32_e32 v22, 0x3e9e377a, v32
	v_fmac_f32_e32 v5, 0x3e9e377a, v32
	v_add_f32_e32 v32, v30, v23
	v_fmac_f32_e32 v55, 0x3f167918, v19
	v_add_f32_e32 v23, v29, v27
	;; [unrolled: 2-line block ×3, first 2 shown]
	v_add_f32_e32 v20, v11, v7
	v_fma_f32 v27, -0.5, v24, v7
	s_waitcnt vmcnt(0)
	v_sub_f32_e32 v24, v12, v16
	v_fmamk_f32 v56, v19, 0xbf737871, v6
	v_fmac_f32_e32 v55, 0x3e9e377a, v23
	v_fmac_f32_e32 v52, 0x3e9e377a, v23
	;; [unrolled: 1-line block ×3, first 2 shown]
	v_add_f32_e32 v19, v13, v20
	v_fmamk_f32 v20, v24, 0xbf737871, v27
	v_sub_f32_e32 v23, v14, v10
	v_sub_f32_e32 v28, v11, v13
	v_sub_f32_e32 v29, v15, v9
	v_add_f32_e32 v30, v15, v11
	v_fmac_f32_e32 v27, 0x3f737871, v24
	v_fmac_f32_e32 v56, 0x3f167918, v17
	;; [unrolled: 1-line block ×3, first 2 shown]
	v_add_f32_e32 v17, v9, v19
	v_fmac_f32_e32 v20, 0xbf167918, v23
	v_add_f32_e32 v19, v29, v28
	v_fmac_f32_e32 v7, -0.5, v30
	v_fmac_f32_e32 v27, 0x3f167918, v23
	v_add_f32_e32 v30, v12, v8
	v_mul_u32_u24_e32 v2, 0x87, v2
	v_fmac_f32_e32 v56, 0x3e9e377a, v18
	v_fmac_f32_e32 v6, 0x3e9e377a, v18
	;; [unrolled: 1-line block ×3, first 2 shown]
	v_fmamk_f32 v18, v23, 0x3f737871, v7
	v_add_f32_e32 v31, v10, v14
	v_fmac_f32_e32 v7, 0xbf737871, v23
	v_add_f32_e32 v23, v14, v30
	v_fmac_f32_e32 v27, 0x3e9e377a, v19
	v_add_f32_e32 v19, v16, v12
	v_add_f32_e32 v17, v15, v17
	v_sub_f32_e32 v28, v13, v11
	v_sub_f32_e32 v29, v9, v15
	v_fmac_f32_e32 v18, 0xbf167918, v24
	v_fma_f32 v57, -0.5, v31, v8
	v_sub_f32_e32 v11, v11, v15
	v_fmac_f32_e32 v7, 0x3f167918, v24
	v_add_f32_e32 v15, v10, v23
	v_sub_f32_e32 v9, v13, v9
	v_sub_f32_e32 v13, v12, v14
	;; [unrolled: 1-line block ×3, first 2 shown]
	v_fmac_f32_e32 v8, -0.5, v19
	v_lshlrev_b32_e32 v24, 2, v2
	v_sub_f32_e32 v2, v14, v12
	v_sub_f32_e32 v10, v10, v16
	v_add_f32_e32 v13, v23, v13
	v_fmamk_f32 v59, v9, 0xbf737871, v8
	v_fmac_f32_e32 v8, 0x3f737871, v9
	v_add_nc_u32_e32 v23, 0, v24
	v_add_f32_e32 v28, v29, v28
	v_add_f32_e32 v2, v10, v2
	v_fmac_f32_e32 v59, 0x3f167918, v11
	v_fmac_f32_e32 v8, 0xbf167918, v11
	v_mad_u32_u24 v60, v36, 20, v23
	v_fmac_f32_e32 v18, 0x3e9e377a, v28
	v_fmac_f32_e32 v7, 0x3e9e377a, v28
	;; [unrolled: 1-line block ×4, first 2 shown]
	ds_write2_b32 v60, v46, v53 offset1:1
	ds_write2_b32 v60, v54, v3 offset0:2 offset1:3
	v_mad_i32_i24 v46, v43, 20, v23
	v_lshlrev_b32_e32 v2, 2, v36
	v_mad_i32_i24 v61, v42, 20, v23
	ds_write_b32 v60, v48 offset:16
	ds_write2_b32 v61, v21, v25 offset1:1
	ds_write2_b32 v61, v22, v5 offset0:2 offset1:3
	ds_write_b32 v61, v26 offset:16
	ds_write2_b32 v46, v17, v20 offset1:1
	ds_write2_b32 v46, v18, v7 offset0:2 offset1:3
	ds_write_b32 v46, v27 offset:16
	v_add3_u32 v18, 0, v2, v24
	v_add_nc_u32_e32 v17, v23, v2
	v_lshlrev_b32_e32 v2, 4, v43
	v_fmamk_f32 v58, v11, 0x3f737871, v57
	v_fmac_f32_e32 v57, 0xbf737871, v11
	v_lshlrev_b32_e32 v3, 4, v42
	v_cmp_gt_u32_e64 s0, 5, v36
	v_sub_nc_u32_e32 v20, v46, v2
	v_add_nc_u32_e32 v2, -5, v36
	v_fmac_f32_e32 v58, 0x3f167918, v9
	v_fmac_f32_e32 v57, 0xbf167918, v9
	v_sub_nc_u32_e32 v19, v61, v3
	v_and_b32_e32 v3, 0xff, v42
	v_cndmask_b32_e64 v72, v2, v36, s0
	v_lshl_add_u32 v21, v44, 2, v23
	v_lshl_add_u32 v22, v45, 2, v23
	v_add_f32_e32 v28, v16, v15
	v_fmac_f32_e32 v58, 0x3e9e377a, v13
	v_fmac_f32_e32 v57, 0x3e9e377a, v13
	s_waitcnt lgkmcnt(0)
	s_barrier
	buffer_gl0_inv
	ds_read2_b32 v[9:10], v18 offset0:81 offset1:90
	ds_read2_b32 v[30:31], v18 offset0:45 offset1:54
	;; [unrolled: 1-line block ×5, first 2 shown]
	ds_read_b32 v29, v17
	ds_read_b32 v27, v19
	;; [unrolled: 1-line block ×5, first 2 shown]
	s_waitcnt lgkmcnt(0)
	s_barrier
	buffer_gl0_inv
	ds_write2_b32 v60, v49, v47 offset1:1
	ds_write2_b32 v60, v51, v4 offset0:2 offset1:3
	ds_write_b32 v60, v50 offset:16
	v_mul_lo_u16 v4, 0xcd, v3
	v_lshlrev_b32_e32 v2, 1, v72
	v_mov_b32_e32 v3, 0
	ds_write2_b32 v61, v32, v55 offset1:1
	ds_write2_b32 v61, v56, v6 offset0:2 offset1:3
	ds_write_b32 v61, v52 offset:16
	ds_write2_b32 v46, v28, v58 offset1:1
	ds_write2_b32 v46, v59, v8 offset0:2 offset1:3
	ds_write_b32 v46, v57 offset:16
	v_lshrrev_b16 v4, 10, v4
	s_waitcnt lgkmcnt(0)
	v_lshlrev_b64 v[6:7], 3, v[2:3]
	s_barrier
	buffer_gl0_inv
	v_mul_lo_u16 v2, v4, 5
	v_and_b32_e32 v4, 0xffff, v4
	v_lshlrev_b32_e32 v72, 2, v72
	v_add_co_u32 v46, s0, s8, v6
	v_add_co_ci_u32_e64 v47, s0, s9, v7, s0
	v_sub_nc_u16 v2, v42, v2
	v_mov_b32_e32 v6, 4
	v_and_b32_e32 v7, 0xff, v43
	global_load_dwordx4 v[46:49], v[46:47], off
	v_cmp_lt_u32_e64 s0, 4, v36
	v_mad_u32_u24 v4, v4, 60, 0
	v_lshlrev_b32_sdwa v8, v6, v2 dst_sel:DWORD dst_unused:UNUSED_PAD src0_sel:DWORD src1_sel:BYTE_0
	v_mul_lo_u16 v28, 0xcd, v7
	v_and_b32_e32 v7, 0xff, v44
	v_cndmask_b32_e64 v70, 0, 60, s0
	v_cmp_gt_u32_e64 s0, 6, v36
	global_load_dwordx4 v[50:53], v8, s[8:9]
	v_lshrrev_b16 v32, 10, v28
	v_mul_lo_u16 v28, 0xcd, v7
	v_and_b32_e32 v8, 0xff, v45
	v_add_nc_u32_e32 v78, 0, v70
	v_mul_lo_u16 v7, 0x89, v7
	v_mul_lo_u16 v54, v32, 5
	v_lshrrev_b16 v73, 10, v28
	v_mul_lo_u16 v28, 0xcd, v8
	v_add3_u32 v78, v78, v72, v24
	v_and_b32_e32 v32, 0xffff, v32
	v_sub_nc_u16 v74, v43, v54
	v_mul_lo_u16 v54, v73, 5
	v_lshrrev_b16 v75, 10, v28
	v_and_b32_e32 v79, 0xffff, v73
	v_lshlrev_b32_sdwa v28, v6, v74 dst_sel:DWORD dst_unused:UNUSED_PAD src0_sel:DWORD src1_sel:BYTE_0
	v_sub_nc_u16 v76, v44, v54
	v_mul_lo_u16 v58, v75, 5
	global_load_dwordx4 v[54:57], v28, s[8:9]
	v_lshlrev_b32_sdwa v28, v6, v76 dst_sel:DWORD dst_unused:UNUSED_PAD src0_sel:DWORD src1_sel:BYTE_0
	v_sub_nc_u16 v77, v45, v58
	global_load_dwordx4 v[58:61], v28, s[8:9]
	v_lshlrev_b32_sdwa v28, v6, v77 dst_sel:DWORD dst_unused:UNUSED_PAD src0_sel:DWORD src1_sel:BYTE_0
	global_load_dwordx4 v[62:65], v28, s[8:9]
	ds_read2_b32 v[66:67], v18 offset0:45 offset1:54
	ds_read2_b32 v[68:69], v18 offset0:81 offset1:90
	v_mov_b32_e32 v28, 2
	ds_read2_b32 v[70:71], v18 offset0:99 offset1:108
	ds_read2_b32 v[72:73], v18 offset0:63 offset1:72
	v_lshlrev_b32_sdwa v2, v28, v2 dst_sel:DWORD dst_unused:UNUSED_PAD src0_sel:DWORD src1_sel:BYTE_0
	v_add3_u32 v2, v4, v2, v24
	s_waitcnt vmcnt(4) lgkmcnt(3)
	v_mul_f32_e32 v4, v66, v47
	v_mul_f32_e32 v47, v30, v47
	s_waitcnt lgkmcnt(2)
	v_mul_f32_e32 v80, v69, v49
	v_mul_f32_e32 v49, v10, v49
	v_fmac_f32_e32 v4, v30, v46
	v_fma_f32 v30, v66, v46, -v47
	ds_read2_b32 v[46:47], v18 offset0:117 offset1:126
	s_waitcnt vmcnt(3)
	v_mul_f32_e32 v81, v67, v51
	v_mul_f32_e32 v51, v31, v51
	v_fmac_f32_e32 v80, v10, v48
	v_fma_f32 v10, v69, v48, -v49
	s_waitcnt lgkmcnt(2)
	v_mul_f32_e32 v48, v70, v53
	v_mul_f32_e32 v49, v15, v53
	v_fmac_f32_e32 v81, v31, v50
	v_fma_f32 v31, v67, v50, -v51
	v_fmac_f32_e32 v48, v15, v52
	v_fma_f32 v15, v70, v52, -v49
	ds_read_b32 v49, v17
	ds_read_b32 v50, v19
	;; [unrolled: 1-line block ×5, first 2 shown]
	s_waitcnt vmcnt(0) lgkmcnt(0)
	s_barrier
	buffer_gl0_inv
	v_mul_f32_e32 v66, v71, v57
	v_mul_f32_e32 v57, v16, v57
	;; [unrolled: 1-line block ×3, first 2 shown]
	v_fmac_f32_e32 v66, v16, v56
	v_mul_f32_e32 v16, v13, v55
	v_mul_f32_e32 v55, v73, v59
	v_fma_f32 v56, v71, v56, -v57
	v_mul_f32_e32 v57, v14, v59
	v_mul_f32_e32 v59, v46, v61
	v_fmac_f32_e32 v67, v13, v54
	v_fma_f32 v13, v72, v54, -v16
	v_mul_f32_e32 v16, v11, v61
	v_mul_f32_e32 v54, v68, v63
	;; [unrolled: 1-line block ×4, first 2 shown]
	v_fmac_f32_e32 v55, v14, v58
	v_mul_f32_e32 v14, v12, v65
	v_fma_f32 v57, v73, v58, -v57
	v_fmac_f32_e32 v59, v11, v60
	v_fma_f32 v11, v46, v60, -v16
	v_fmac_f32_e32 v54, v9, v62
	v_fmac_f32_e32 v63, v12, v64
	v_fma_f32 v9, v68, v62, -v61
	v_add_f32_e32 v16, v4, v80
	v_fma_f32 v12, v47, v64, -v14
	v_add_f32_e32 v14, v29, v4
	v_add_f32_e32 v58, v27, v81
	;; [unrolled: 1-line block ×3, first 2 shown]
	v_sub_f32_e32 v62, v81, v48
	v_add_f32_e32 v73, v52, v57
	v_sub_f32_e32 v81, v57, v11
	v_add_f32_e32 v57, v57, v11
	v_add_f32_e32 v83, v54, v63
	v_add_f32_e32 v46, v49, v30
	v_sub_f32_e32 v47, v30, v10
	v_add_f32_e32 v84, v53, v9
	v_fmac_f32_e32 v29, -0.5, v16
	v_add_f32_e32 v30, v30, v10
	v_sub_f32_e32 v4, v4, v80
	v_add_f32_e32 v71, v25, v55
	v_add_f32_e32 v72, v55, v59
	v_sub_f32_e32 v55, v55, v59
	v_add_f32_e32 v82, v5, v54
	v_add_f32_e32 v14, v14, v80
	v_add_f32_e32 v80, v9, v12
	v_sub_f32_e32 v9, v9, v12
	v_fmac_f32_e32 v52, -0.5, v57
	v_fmac_f32_e32 v5, -0.5, v83
	v_add_f32_e32 v68, v67, v66
	v_add_f32_e32 v16, v46, v10
	v_add_f32_e32 v10, v58, v48
	v_add_f32_e32 v48, v84, v12
	v_fmamk_f32 v12, v47, 0xbf5db3d7, v29
	v_fmac_f32_e32 v29, 0x3f5db3d7, v47
	v_sub_f32_e32 v64, v31, v15
	v_fmac_f32_e32 v49, -0.5, v30
	v_fmac_f32_e32 v27, -0.5, v60
	v_add_f32_e32 v61, v50, v31
	v_sub_f32_e32 v54, v54, v63
	v_fmac_f32_e32 v53, -0.5, v80
	v_fmamk_f32 v60, v55, 0x3f5db3d7, v52
	v_fmac_f32_e32 v52, 0xbf5db3d7, v55
	v_fmamk_f32 v55, v9, 0xbf5db3d7, v5
	v_fmac_f32_e32 v5, 0x3f5db3d7, v9
	v_and_b32_e32 v9, 0xffff, v75
	v_add_f32_e32 v65, v26, v67
	v_sub_f32_e32 v70, v13, v56
	v_fmac_f32_e32 v26, -0.5, v68
	ds_write2_b32 v78, v14, v12 offset1:5
	ds_write_b32 v78, v29 offset:40
	v_mad_u32_u24 v12, v32, 60, 0
	v_lshlrev_b32_sdwa v14, v28, v74 dst_sel:DWORD dst_unused:UNUSED_PAD src0_sel:DWORD src1_sel:BYTE_0
	v_add_f32_e32 v31, v31, v15
	v_add_f32_e32 v69, v51, v13
	;; [unrolled: 1-line block ×3, first 2 shown]
	v_fmac_f32_e32 v25, -0.5, v72
	v_fmamk_f32 v47, v4, 0x3f5db3d7, v49
	v_fmac_f32_e32 v49, 0xbf5db3d7, v4
	v_fmamk_f32 v4, v64, 0xbf5db3d7, v27
	v_mad_u32_u24 v29, v79, 60, 0
	v_lshlrev_b32_sdwa v32, v28, v76 dst_sel:DWORD dst_unused:UNUSED_PAD src0_sel:DWORD src1_sel:BYTE_0
	v_add_f32_e32 v30, v61, v15
	v_fmac_f32_e32 v27, 0x3f5db3d7, v64
	v_fmamk_f32 v61, v54, 0x3f5db3d7, v53
	v_fmac_f32_e32 v53, 0xbf5db3d7, v54
	v_mad_u32_u24 v9, v9, 60, 0
	v_lshlrev_b32_sdwa v54, v28, v77 dst_sel:DWORD dst_unused:UNUSED_PAD src0_sel:DWORD src1_sel:BYTE_0
	v_add_f32_e32 v15, v65, v66
	v_fmamk_f32 v57, v70, 0xbf5db3d7, v26
	v_add3_u32 v68, v12, v14, v24
	v_fmac_f32_e32 v26, 0x3f5db3d7, v70
	v_fmac_f32_e32 v50, -0.5, v31
	v_fmac_f32_e32 v51, -0.5, v13
	v_add_f32_e32 v13, v71, v59
	v_fmamk_f32 v59, v81, 0xbf5db3d7, v25
	ds_write2_b32 v2, v10, v4 offset1:5
	v_add3_u32 v4, v29, v32, v24
	v_fmac_f32_e32 v25, 0x3f5db3d7, v81
	v_sub_f32_e32 v67, v67, v66
	v_add_f32_e32 v46, v73, v11
	v_add_f32_e32 v11, v82, v63
	ds_write_b32 v2, v27 offset:40
	v_add3_u32 v27, v9, v54, v24
	ds_write2_b32 v68, v15, v57 offset1:5
	ds_write_b32 v68, v26 offset:40
	ds_write2_b32 v4, v13, v59 offset1:5
	ds_write_b32 v4, v25 offset:40
	;; [unrolled: 2-line block ×3, first 2 shown]
	v_add_nc_u32_e32 v5, -6, v36
	v_add_f32_e32 v31, v69, v56
	v_fmamk_f32 v56, v62, 0x3f5db3d7, v50
	v_fmac_f32_e32 v50, 0xbf5db3d7, v62
	v_fmamk_f32 v58, v67, 0x3f5db3d7, v51
	v_fmac_f32_e32 v51, 0xbf5db3d7, v67
	s_waitcnt lgkmcnt(0)
	s_barrier
	buffer_gl0_inv
	ds_read2_b32 v[14:15], v18 offset0:81 offset1:90
	ds_read2_b32 v[25:26], v18 offset0:45 offset1:54
	;; [unrolled: 1-line block ×5, first 2 shown]
	ds_read_b32 v13, v17
	ds_read_b32 v12, v19
	;; [unrolled: 1-line block ×5, first 2 shown]
	s_waitcnt lgkmcnt(0)
	s_barrier
	buffer_gl0_inv
	ds_write2_b32 v78, v16, v47 offset1:5
	ds_write_b32 v78, v49 offset:40
	ds_write2_b32 v2, v30, v56 offset1:5
	ds_write_b32 v2, v50 offset:40
	ds_write2_b32 v68, v31, v58 offset1:5
	v_cndmask_b32_e64 v16, v5, v42, s0
	v_lshlrev_b32_e32 v2, 1, v36
	ds_write_b32 v68, v51 offset:40
	ds_write2_b32 v4, v46, v60 offset1:5
	ds_write_b32 v4, v52 offset:40
	ds_write2_b32 v27, v48, v61 offset1:5
	ds_write_b32 v27, v53 offset:40
	v_mul_lo_u16 v27, 0x89, v8
	v_lshlrev_b32_e32 v29, 1, v16
	v_mov_b32_e32 v30, v3
	v_lshlrev_b64 v[4:5], 3, v[2:3]
	v_add_nc_u32_e32 v2, 6, v2
	v_lshrrev_b16 v68, 11, v7
	v_lshrrev_b16 v27, 11, v27
	v_lshlrev_b64 v[29:30], 3, v[29:30]
	s_waitcnt lgkmcnt(0)
	v_add_co_u32 v4, s0, s8, v4
	v_mul_lo_u16 v52, v68, 15
	v_lshlrev_b64 v[50:51], 3, v[2:3]
	v_mul_lo_u16 v2, v27, 15
	v_add_co_ci_u32_e64 v5, s0, s9, v5, s0
	v_add_co_u32 v7, s0, s8, v29
	v_add_co_ci_u32_e64 v8, s0, s9, v30, s0
	v_sub_nc_u16 v27, v44, v52
	v_sub_nc_u16 v2, v45, v2
	s_barrier
	buffer_gl0_inv
	s_clause 0x1
	global_load_dwordx4 v[29:32], v[4:5], off offset:80
	global_load_dwordx4 v[46:49], v[7:8], off offset:80
	v_add_co_u32 v7, s0, s8, v50
	v_add_co_ci_u32_e64 v8, s0, s9, v51, s0
	v_lshlrev_b32_sdwa v6, v6, v27 dst_sel:DWORD dst_unused:UNUSED_PAD src0_sel:DWORD src1_sel:BYTE_0
	v_and_b32_e32 v2, 0xff, v2
	v_cmp_lt_u32_e64 s0, 5, v36
	global_load_dwordx4 v[50:53], v[7:8], off offset:80
	v_lshlrev_b32_sdwa v71, v28, v27 dst_sel:DWORD dst_unused:UNUSED_PAD src0_sel:DWORD src1_sel:BYTE_0
	global_load_dwordx4 v[54:57], v6, s[8:9] offset:80
	v_lshlrev_b32_e32 v6, 4, v2
	v_and_b32_e32 v8, 0xffff, v68
	ds_read2_b32 v[68:69], v18 offset0:81 offset1:90
	ds_read2_b32 v[27:28], v18 offset0:99 offset1:108
	v_lshlrev_b32_e32 v16, 2, v16
	global_load_dwordx4 v[58:61], v6, s[8:9] offset:80
	v_cndmask_b32_e64 v6, 0, 0xb4, s0
	v_mad_u32_u24 v8, 0xb4, v8, 0
	v_lshl_add_u32 v2, v2, 2, v23
	v_add_nc_u32_e32 v70, 0, v6
	ds_read2_b32 v[6:7], v18 offset0:45 offset1:54
	v_add3_u32 v73, v8, v71, v24
	v_add3_u32 v72, v70, v16, v24
	ds_read2_b32 v[23:24], v18 offset0:63 offset1:72
	ds_read2_b32 v[70:71], v18 offset0:117 offset1:126
	ds_read_b32 v74, v17
	ds_read_b32 v75, v19
	;; [unrolled: 1-line block ×5, first 2 shown]
	s_waitcnt vmcnt(0) lgkmcnt(0)
	s_barrier
	buffer_gl0_inv
	v_mul_f32_e32 v8, v6, v30
	v_mul_f32_e32 v16, v25, v30
	;; [unrolled: 1-line block ×8, first 2 shown]
	v_fmac_f32_e32 v8, v25, v29
	v_fma_f32 v6, v6, v29, -v16
	v_fmac_f32_e32 v30, v15, v31
	v_fma_f32 v15, v69, v31, -v32
	v_mul_f32_e32 v16, v28, v53
	v_mul_f32_e32 v29, v23, v51
	;; [unrolled: 1-line block ×3, first 2 shown]
	v_fmac_f32_e32 v79, v26, v46
	v_mul_f32_e32 v26, v24, v55
	v_fma_f32 v7, v7, v46, -v47
	v_mul_f32_e32 v46, v70, v57
	v_fmac_f32_e32 v80, v62, v48
	v_fma_f32 v27, v27, v48, -v49
	v_mul_f32_e32 v48, v68, v59
	v_mul_f32_e32 v51, v71, v61
	;; [unrolled: 1-line block ×7, first 2 shown]
	v_fmac_f32_e32 v16, v63, v52
	v_fmac_f32_e32 v29, v64, v50
	;; [unrolled: 1-line block ×6, first 2 shown]
	v_fma_f32 v25, v28, v52, -v25
	v_fma_f32 v23, v23, v50, -v31
	;; [unrolled: 1-line block ×6, first 2 shown]
	v_add_f32_e32 v47, v8, v30
	v_sub_f32_e32 v49, v6, v15
	v_add_f32_e32 v50, v74, v6
	v_add_f32_e32 v6, v6, v15
	;; [unrolled: 1-line block ×7, first 2 shown]
	v_sub_f32_e32 v59, v23, v25
	v_add_f32_e32 v60, v76, v23
	v_add_f32_e32 v23, v23, v25
	v_sub_f32_e32 v63, v24, v28
	v_add_f32_e32 v64, v77, v24
	v_add_f32_e32 v24, v24, v28
	;; [unrolled: 3-line block ×3, first 2 shown]
	v_fmac_f32_e32 v13, -0.5, v47
	v_sub_f32_e32 v8, v8, v30
	v_add_f32_e32 v52, v12, v79
	v_sub_f32_e32 v54, v7, v27
	v_add_f32_e32 v61, v10, v26
	v_fmac_f32_e32 v74, -0.5, v6
	v_fmac_f32_e32 v12, -0.5, v53
	v_add_f32_e32 v55, v75, v7
	v_add_f32_e32 v7, v7, v27
	;; [unrolled: 1-line block ×4, first 2 shown]
	v_fmac_f32_e32 v11, -0.5, v58
	v_fmac_f32_e32 v10, -0.5, v62
	v_fmac_f32_e32 v9, -0.5, v66
	v_sub_f32_e32 v29, v29, v16
	v_sub_f32_e32 v26, v26, v46
	v_add_f32_e32 v30, v32, v30
	v_fmac_f32_e32 v76, -0.5, v23
	v_fmac_f32_e32 v77, -0.5, v24
	;; [unrolled: 1-line block ×3, first 2 shown]
	v_fmamk_f32 v14, v49, 0xbf5db3d7, v13
	v_fmac_f32_e32 v13, 0x3f5db3d7, v49
	v_add_f32_e32 v32, v50, v15
	v_add_f32_e32 v6, v52, v80
	;; [unrolled: 1-line block ×3, first 2 shown]
	v_fmamk_f32 v46, v8, 0x3f5db3d7, v74
	v_fmac_f32_e32 v74, 0xbf5db3d7, v8
	v_fmamk_f32 v8, v54, 0xbf5db3d7, v12
	v_fmac_f32_e32 v12, 0x3f5db3d7, v54
	v_fmac_f32_e32 v75, -0.5, v7
	v_add_f32_e32 v7, v57, v16
	v_add_f32_e32 v47, v60, v25
	;; [unrolled: 1-line block ×3, first 2 shown]
	v_fmamk_f32 v23, v59, 0xbf5db3d7, v11
	v_fmac_f32_e32 v11, 0x3f5db3d7, v59
	v_fmamk_f32 v24, v63, 0xbf5db3d7, v10
	v_fmac_f32_e32 v10, 0x3f5db3d7, v63
	;; [unrolled: 2-line block ×5, first 2 shown]
	ds_write2_b32 v18, v30, v14 offset1:15
	ds_write_b32 v18, v13 offset:120
	ds_write2_b32 v72, v6, v8 offset1:15
	ds_write_b32 v72, v12 offset:120
	ds_write2_b32 v18, v7, v23 offset0:48 offset1:63
	ds_write_b32 v18, v11 offset:312
	ds_write2_b32 v73, v15, v24 offset1:15
	ds_write_b32 v73, v10 offset:120
	ds_write2_b32 v2, v16, v25 offset0:90 offset1:105
	ds_write_b32 v2, v9 offset:480
	s_waitcnt lgkmcnt(0)
	s_barrier
	buffer_gl0_inv
	ds_read2_b32 v[6:7], v18 offset0:45 offset1:54
	ds_read2_b32 v[14:15], v18 offset0:81 offset1:90
	;; [unrolled: 1-line block ×5, first 2 shown]
	ds_read_b32 v25, v17
	ds_read_b32 v16, v19
	;; [unrolled: 1-line block ×5, first 2 shown]
	v_sub_f32_e32 v56, v79, v80
	v_sub_f32_e32 v48, v48, v51
	v_add_f32_e32 v27, v55, v27
	v_add_f32_e32 v28, v64, v28
	v_add_f32_e32 v30, v68, v31
	v_fmamk_f32 v49, v56, 0x3f5db3d7, v75
	v_fmac_f32_e32 v75, 0xbf5db3d7, v56
	v_fmamk_f32 v31, v48, 0x3f5db3d7, v78
	v_fmac_f32_e32 v78, 0xbf5db3d7, v48
	s_waitcnt lgkmcnt(0)
	s_barrier
	buffer_gl0_inv
	ds_write2_b32 v18, v32, v46 offset1:15
	ds_write_b32 v18, v74 offset:120
	ds_write2_b32 v72, v27, v49 offset1:15
	ds_write_b32 v72, v75 offset:120
	ds_write2_b32 v18, v47, v50 offset0:48 offset1:63
	ds_write_b32 v18, v76 offset:312
	ds_write2_b32 v73, v28, v29 offset1:15
	ds_write_b32 v73, v77 offset:120
	ds_write2_b32 v2, v30, v31 offset0:90 offset1:105
	ds_write_b32 v2, v78 offset:480
	s_waitcnt lgkmcnt(0)
	s_barrier
	buffer_gl0_inv
	s_and_saveexec_b32 s0, vcc_lo
	s_cbranch_execz .LBB0_14
; %bb.13:
	v_lshlrev_b32_e32 v2, 1, v45
	v_mul_hi_u32 v67, 0x6c16c16d, v34
	v_mul_hi_u32 v66, 0x6c16c16d, v33
	;; [unrolled: 1-line block ×3, first 2 shown]
	v_mad_u64_u32 v[56:57], null, s2, v37, 0
	v_lshlrev_b64 v[27:28], 3, v[2:3]
	v_lshlrev_b32_e32 v2, 1, v44
	global_load_dwordx4 v[44:47], v[4:5], off offset:320
	v_sub_nc_u32_e32 v70, v34, v67
	v_mad_u64_u32 v[58:59], null, s2, v39, 0
	v_lshlrev_b64 v[31:32], 3, v[2:3]
	v_add_co_u32 v27, vcc_lo, s8, v27
	v_add_co_ci_u32_e32 v28, vcc_lo, s9, v28, vcc_lo
	v_lshlrev_b32_e32 v2, 1, v43
	v_add_co_u32 v4, vcc_lo, s8, v31
	v_add_co_ci_u32_e32 v5, vcc_lo, s9, v32, vcc_lo
	global_load_dwordx4 v[27:30], v[27:28], off offset:320
	v_mad_u64_u32 v[31:32], null, s2, v36, 0
	global_load_dwordx4 v[48:51], v[4:5], off offset:320
	v_lshlrev_b64 v[4:5], 3, v[2:3]
	v_lshlrev_b32_e32 v2, 1, v42
	v_mad_u64_u32 v[42:43], null, s2, v40, 0
	v_sub_nc_u32_e32 v69, v33, v66
	v_mad_u64_u32 v[62:63], null, s3, v36, v[32:33]
	v_lshlrev_b64 v[2:3], 3, v[2:3]
	v_add_co_u32 v4, vcc_lo, s8, v4
	v_add_co_ci_u32_e32 v5, vcc_lo, s9, v5, vcc_lo
	v_mad_u64_u32 v[60:61], null, s2, v38, 0
	v_add_co_u32 v2, vcc_lo, s8, v2
	v_add_co_ci_u32_e32 v3, vcc_lo, s9, v3, vcc_lo
	global_load_dwordx4 v[52:55], v[4:5], off offset:320
	v_add_co_u32 v87, vcc_lo, s12, v0
	global_load_dwordx4 v[2:5], v[2:3], off offset:320
	v_add_co_ci_u32_e32 v88, vcc_lo, s13, v1, vcc_lo
	v_mad_u64_u32 v[0:1], null, s2, v41, 0
	v_lshrrev_b32_e32 v32, 1, v70
	v_sub_nc_u32_e32 v71, v35, v68
	v_mad_u64_u32 v[36:37], null, s3, v37, v[57:58]
	v_mad_u64_u32 v[37:38], null, s3, v38, v[61:62]
	ds_read2_b32 v[82:83], v18 offset0:117 offset1:126
	v_mov_b32_e32 v57, v36
	v_mov_b32_e32 v61, v37
	s_waitcnt vmcnt(0)
	v_mad_u64_u32 v[63:64], null, s3, v41, v[1:2]
	v_mad_u64_u32 v[40:41], null, s3, v40, v[43:44]
	v_lshrrev_b32_e32 v1, 1, v69
	v_add_nc_u32_e32 v41, v32, v67
	v_mov_b32_e32 v32, v62
	v_mad_u64_u32 v[64:65], null, s3, v39, v[59:60]
	v_lshrrev_b32_e32 v39, 1, v71
	v_add_nc_u32_e32 v38, v1, v66
	v_mov_b32_e32 v1, v63
	v_lshlrev_b64 v[31:32], 3, v[31:32]
	v_mov_b32_e32 v43, v40
	v_add_nc_u32_e32 v39, v39, v68
	v_lshrrev_b32_e32 v62, 5, v38
	v_lshlrev_b64 v[0:1], 3, v[0:1]
	v_lshrrev_b32_e32 v63, 5, v41
	v_lshlrev_b64 v[36:37], 3, v[42:43]
	v_add_co_u32 v31, vcc_lo, v87, v31
	v_mov_b32_e32 v59, v64
	v_lshrrev_b32_e32 v64, 5, v39
	v_add_co_ci_u32_e32 v32, vcc_lo, v88, v32, vcc_lo
	v_lshlrev_b64 v[38:39], 3, v[56:57]
	v_mad_u32_u24 v70, 0x5a, v62, v33
	v_add_co_u32 v0, vcc_lo, v87, v0
	v_mad_u32_u24 v72, 0x5a, v63, v34
	v_add_co_ci_u32_e32 v1, vcc_lo, v88, v1, vcc_lo
	v_lshlrev_b64 v[40:41], 3, v[58:59]
	v_add_co_u32 v33, vcc_lo, v87, v36
	v_mad_u32_u24 v73, 0x5a, v64, v35
	v_add_co_ci_u32_e32 v34, vcc_lo, v88, v37, vcc_lo
	v_add_nc_u32_e32 v74, 45, v70
	v_lshlrev_b64 v[42:43], 3, v[60:61]
	v_add_co_u32 v35, vcc_lo, v87, v38
	v_mad_u64_u32 v[56:57], null, s2, v72, 0
	v_add_co_ci_u32_e32 v36, vcc_lo, v88, v39, vcc_lo
	v_add_co_u32 v37, vcc_lo, v87, v40
	v_add_nc_u32_e32 v75, 0x5a, v70
	v_mad_u64_u32 v[58:59], null, s2, v73, 0
	v_add_nc_u32_e32 v76, 45, v72
	v_add_nc_u32_e32 v78, 0x5a, v72
	;; [unrolled: 1-line block ×3, first 2 shown]
	v_mad_u64_u32 v[60:61], null, s2, v74, 0
	v_add_co_ci_u32_e32 v38, vcc_lo, v88, v41, vcc_lo
	v_add_co_u32 v39, vcc_lo, v87, v42
	v_mad_u64_u32 v[41:42], null, s2, v70, 0
	v_mad_u64_u32 v[62:63], null, s2, v75, 0
	;; [unrolled: 1-line block ×4, first 2 shown]
	v_add_co_ci_u32_e32 v40, vcc_lo, v88, v43, vcc_lo
	v_mad_u64_u32 v[68:69], null, s2, v80, 0
	v_mov_b32_e32 v43, v57
	v_mov_b32_e32 v57, v59
	;; [unrolled: 1-line block ×3, first 2 shown]
	v_add_nc_u32_e32 v84, 0x5a, v73
	v_mad_u64_u32 v[70:71], null, s3, v70, v[42:43]
	v_mad_u64_u32 v[71:72], null, s3, v72, v[43:44]
	v_mov_b32_e32 v42, v63
	v_mad_u64_u32 v[72:73], null, s3, v73, v[57:58]
	v_mov_b32_e32 v43, v65
	v_mov_b32_e32 v57, v67
	v_mad_u64_u32 v[73:74], null, s3, v74, v[59:60]
	v_mov_b32_e32 v59, v69
	v_mad_u64_u32 v[74:75], null, s3, v75, v[42:43]
	v_mad_u64_u32 v[78:79], null, s3, v78, v[57:58]
	;; [unrolled: 1-line block ×5, first 2 shown]
	ds_read2_b32 v[80:81], v18 offset0:81 offset1:90
	v_mov_b32_e32 v42, v70
	v_mov_b32_e32 v57, v71
	ds_read2_b32 v[70:71], v18 offset0:45 offset1:54
	v_mov_b32_e32 v59, v72
	v_mov_b32_e32 v61, v73
	ds_read2_b32 v[72:73], v18 offset0:63 offset1:72
	v_mov_b32_e32 v43, v77
	v_mov_b32_e32 v63, v74
	v_mov_b32_e32 v67, v78
	v_mov_b32_e32 v69, v79
	;; [unrolled: 1-line block ×3, first 2 shown]
	v_mad_u64_u32 v[84:85], null, s3, v84, v[43:44]
	ds_read2_b32 v[85:86], v18 offset0:99 offset1:108
	ds_read_b32 v43, v22
	ds_read_b32 v89, v21
	;; [unrolled: 1-line block ×5, first 2 shown]
	v_lshlrev_b64 v[17:18], 3, v[41:42]
	v_lshlrev_b64 v[19:20], 3, v[56:57]
	v_lshlrev_b64 v[41:42], 3, v[60:61]
	v_lshlrev_b64 v[56:57], 3, v[62:63]
	v_lshlrev_b64 v[60:61], 3, v[66:67]
	v_lshlrev_b64 v[62:63], 3, v[68:69]
	v_mul_f32_e32 v66, v14, v28
	v_mul_f32_e32 v67, v13, v30
	s_waitcnt lgkmcnt(8)
	v_mul_f32_e32 v28, v80, v28
	v_mul_f32_e32 v30, v83, v30
	;; [unrolled: 1-line block ×5, first 2 shown]
	s_waitcnt lgkmcnt(7)
	v_mul_f32_e32 v45, v70, v45
	v_fma_f32 v66, v80, v27, -v66
	v_fma_f32 v67, v83, v29, -v67
	v_fmac_f32_e32 v28, v14, v27
	v_fmac_f32_e32 v30, v13, v29
	v_fma_f32 v27, v81, v46, -v68
	v_fmac_f32_e32 v47, v15, v46
	v_fma_f32 v13, v70, v44, -v69
	v_mul_f32_e32 v14, v12, v51
	v_mul_f32_e32 v15, v82, v51
	;; [unrolled: 1-line block ×3, first 2 shown]
	s_waitcnt lgkmcnt(6)
	v_mul_f32_e32 v46, v73, v49
	v_fmac_f32_e32 v45, v6, v44
	v_fma_f32 v44, v82, v50, -v14
	v_fmac_f32_e32 v15, v12, v50
	v_fma_f32 v6, v73, v48, -v29
	v_fmac_f32_e32 v46, v11, v48
	v_add_f32_e32 v11, v66, v67
	v_sub_f32_e32 v29, v28, v30
	v_add_f32_e32 v14, v28, v30
	s_waitcnt lgkmcnt(4)
	v_add_f32_e32 v48, v43, v66
	v_sub_f32_e32 v49, v66, v67
	v_add_f32_e32 v28, v26, v28
	v_mul_f32_e32 v50, v10, v53
	v_mul_f32_e32 v51, v9, v55
	;; [unrolled: 1-line block ×4, first 2 shown]
	v_add_f32_e32 v66, v13, v27
	v_sub_f32_e32 v68, v45, v47
	v_add_f32_e32 v70, v45, v47
	v_add_f32_e32 v45, v25, v45
	v_lshlrev_b64 v[21:22], 3, v[58:59]
	v_add_co_u32 v17, vcc_lo, v87, v17
	v_add_co_ci_u32_e32 v18, vcc_lo, v88, v18, vcc_lo
	s_waitcnt lgkmcnt(0)
	v_add_f32_e32 v69, v92, v13
	v_sub_f32_e32 v73, v13, v27
	v_fma_f32 v12, -0.5, v11, v43
	v_fma_f32 v11, -0.5, v14, v26
	v_add_f32_e32 v14, v48, v67
	v_add_f32_e32 v13, v28, v30
	v_fmac_f32_e32 v53, v10, v52
	v_fma_f32 v48, v86, v54, -v51
	v_fmac_f32_e32 v55, v9, v54
	v_add_f32_e32 v30, v89, v6
	v_add_f32_e32 v51, v46, v15
	v_fma_f32 v10, -0.5, v66, v92
	v_fma_f32 v9, -0.5, v70, v25
	v_mul_f32_e32 v54, v7, v3
	v_mul_f32_e32 v66, v8, v5
	v_add_f32_e32 v25, v45, v47
	v_mul_f32_e32 v45, v71, v3
	v_mul_f32_e32 v47, v85, v5
	v_add_co_u32 v19, vcc_lo, v87, v19
	v_add_co_ci_u32_e32 v20, vcc_lo, v88, v20, vcc_lo
	v_add_co_u32 v21, vcc_lo, v87, v21
	v_fma_f32 v43, v72, v52, -v50
	v_sub_f32_e32 v50, v46, v15
	v_add_f32_e32 v46, v24, v46
	v_add_f32_e32 v28, v6, v44
	v_sub_f32_e32 v52, v6, v44
	v_add_f32_e32 v26, v69, v27
	v_fmamk_f32 v5, v49, 0x3f5db3d7, v11
	v_fmac_f32_e32 v11, 0xbf5db3d7, v49
	v_add_f32_e32 v30, v30, v44
	v_fma_f32 v27, -0.5, v51, v24
	v_sub_f32_e32 v44, v53, v55
	v_add_f32_e32 v49, v53, v55
	v_add_f32_e32 v51, v23, v53
	v_fma_f32 v53, v71, v2, -v54
	v_fma_f32 v54, v85, v4, -v66
	v_fmac_f32_e32 v45, v7, v2
	v_fmac_f32_e32 v47, v8, v4
	v_add_co_ci_u32_e32 v22, vcc_lo, v88, v22, vcc_lo
	v_lshlrev_b64 v[58:59], 3, v[64:65]
	v_add_co_u32 v41, vcc_lo, v87, v41
	v_add_co_ci_u32_e32 v42, vcc_lo, v88, v42, vcc_lo
	v_fmamk_f32 v6, v29, 0xbf5db3d7, v12
	v_fmac_f32_e32 v12, 0x3f5db3d7, v29
	v_add_f32_e32 v29, v46, v15
	v_add_f32_e32 v15, v43, v48
	v_add_co_u32 v56, vcc_lo, v87, v56
	v_add_f32_e32 v46, v90, v43
	v_fmamk_f32 v3, v68, 0xbf5db3d7, v10
	v_fmac_f32_e32 v10, 0x3f5db3d7, v68
	v_fmamk_f32 v2, v73, 0x3f5db3d7, v9
	v_fmac_f32_e32 v9, 0xbf5db3d7, v73
	global_store_dwordx2 v[31:32], v[25:26], off
	v_add_f32_e32 v4, v53, v54
	v_add_f32_e32 v32, v45, v47
	v_mov_b32_e32 v77, v84
	v_add_co_ci_u32_e32 v57, vcc_lo, v88, v57, vcc_lo
	v_add_co_u32 v58, vcc_lo, v87, v58
	v_fma_f32 v24, -0.5, v15, v90
	v_sub_f32_e32 v15, v45, v47
	v_add_f32_e32 v31, v91, v53
	v_add_f32_e32 v45, v16, v45
	v_add_co_ci_u32_e32 v59, vcc_lo, v88, v59, vcc_lo
	v_add_f32_e32 v26, v46, v48
	v_sub_f32_e32 v46, v53, v54
	global_store_dwordx2 v[0:1], v[9:10], off
	global_store_dwordx2 v[33:34], v[2:3], off
	v_fma_f32 v1, -0.5, v4, v91
	v_fma_f32 v0, -0.5, v32, v16
	v_lshlrev_b64 v[64:65], 3, v[76:77]
	v_add_co_u32 v60, vcc_lo, v87, v60
	v_add_co_ci_u32_e32 v61, vcc_lo, v88, v61, vcc_lo
	v_sub_f32_e32 v43, v43, v48
	v_fma_f32 v23, -0.5, v49, v23
	v_add_co_u32 v62, vcc_lo, v87, v62
	v_fma_f32 v28, -0.5, v28, v89
	v_add_f32_e32 v10, v31, v54
	v_add_f32_e32 v9, v45, v47
	v_fmamk_f32 v16, v15, 0xbf5db3d7, v1
	v_fmac_f32_e32 v1, 0x3f5db3d7, v15
	v_fmamk_f32 v15, v46, 0x3f5db3d7, v0
	v_fmac_f32_e32 v0, 0xbf5db3d7, v46
	v_add_co_ci_u32_e32 v63, vcc_lo, v88, v63, vcc_lo
	v_add_co_u32 v64, vcc_lo, v87, v64
	v_add_f32_e32 v25, v51, v55
	v_fmamk_f32 v3, v44, 0xbf5db3d7, v24
	v_fmac_f32_e32 v24, 0x3f5db3d7, v44
	v_fmamk_f32 v2, v43, 0x3f5db3d7, v23
	v_fmac_f32_e32 v23, 0xbf5db3d7, v43
	v_add_co_ci_u32_e32 v65, vcc_lo, v88, v65, vcc_lo
	v_fmamk_f32 v8, v50, 0xbf5db3d7, v28
	v_fmac_f32_e32 v28, 0x3f5db3d7, v50
	v_fmamk_f32 v7, v52, 0x3f5db3d7, v27
	v_fmac_f32_e32 v27, 0xbf5db3d7, v52
	global_store_dwordx2 v[35:36], v[9:10], off
	global_store_dwordx2 v[37:38], v[0:1], off
	;; [unrolled: 1-line block ×12, first 2 shown]
.LBB0_14:
	s_endpgm
	.section	.rodata,"a",@progbits
	.p2align	6, 0x0
	.amdhsa_kernel fft_rtc_back_len135_factors_5_3_3_3_wgs_126_tpt_9_halfLds_sp_ip_CI_sbrr_dirReg
		.amdhsa_group_segment_fixed_size 0
		.amdhsa_private_segment_fixed_size 0
		.amdhsa_kernarg_size 88
		.amdhsa_user_sgpr_count 6
		.amdhsa_user_sgpr_private_segment_buffer 1
		.amdhsa_user_sgpr_dispatch_ptr 0
		.amdhsa_user_sgpr_queue_ptr 0
		.amdhsa_user_sgpr_kernarg_segment_ptr 1
		.amdhsa_user_sgpr_dispatch_id 0
		.amdhsa_user_sgpr_flat_scratch_init 0
		.amdhsa_user_sgpr_private_segment_size 0
		.amdhsa_wavefront_size32 1
		.amdhsa_uses_dynamic_stack 0
		.amdhsa_system_sgpr_private_segment_wavefront_offset 0
		.amdhsa_system_sgpr_workgroup_id_x 1
		.amdhsa_system_sgpr_workgroup_id_y 0
		.amdhsa_system_sgpr_workgroup_id_z 0
		.amdhsa_system_sgpr_workgroup_info 0
		.amdhsa_system_vgpr_workitem_id 0
		.amdhsa_next_free_vgpr 93
		.amdhsa_next_free_sgpr 23
		.amdhsa_reserve_vcc 1
		.amdhsa_reserve_flat_scratch 0
		.amdhsa_float_round_mode_32 0
		.amdhsa_float_round_mode_16_64 0
		.amdhsa_float_denorm_mode_32 3
		.amdhsa_float_denorm_mode_16_64 3
		.amdhsa_dx10_clamp 1
		.amdhsa_ieee_mode 1
		.amdhsa_fp16_overflow 0
		.amdhsa_workgroup_processor_mode 1
		.amdhsa_memory_ordered 1
		.amdhsa_forward_progress 0
		.amdhsa_shared_vgpr_count 0
		.amdhsa_exception_fp_ieee_invalid_op 0
		.amdhsa_exception_fp_denorm_src 0
		.amdhsa_exception_fp_ieee_div_zero 0
		.amdhsa_exception_fp_ieee_overflow 0
		.amdhsa_exception_fp_ieee_underflow 0
		.amdhsa_exception_fp_ieee_inexact 0
		.amdhsa_exception_int_div_zero 0
	.end_amdhsa_kernel
	.text
.Lfunc_end0:
	.size	fft_rtc_back_len135_factors_5_3_3_3_wgs_126_tpt_9_halfLds_sp_ip_CI_sbrr_dirReg, .Lfunc_end0-fft_rtc_back_len135_factors_5_3_3_3_wgs_126_tpt_9_halfLds_sp_ip_CI_sbrr_dirReg
                                        ; -- End function
	.section	.AMDGPU.csdata,"",@progbits
; Kernel info:
; codeLenInByte = 8032
; NumSgprs: 25
; NumVgprs: 93
; ScratchSize: 0
; MemoryBound: 0
; FloatMode: 240
; IeeeMode: 1
; LDSByteSize: 0 bytes/workgroup (compile time only)
; SGPRBlocks: 3
; VGPRBlocks: 11
; NumSGPRsForWavesPerEU: 25
; NumVGPRsForWavesPerEU: 93
; Occupancy: 10
; WaveLimiterHint : 1
; COMPUTE_PGM_RSRC2:SCRATCH_EN: 0
; COMPUTE_PGM_RSRC2:USER_SGPR: 6
; COMPUTE_PGM_RSRC2:TRAP_HANDLER: 0
; COMPUTE_PGM_RSRC2:TGID_X_EN: 1
; COMPUTE_PGM_RSRC2:TGID_Y_EN: 0
; COMPUTE_PGM_RSRC2:TGID_Z_EN: 0
; COMPUTE_PGM_RSRC2:TIDIG_COMP_CNT: 0
	.text
	.p2alignl 6, 3214868480
	.fill 48, 4, 3214868480
	.type	__hip_cuid_cf445b3f11a5183d,@object ; @__hip_cuid_cf445b3f11a5183d
	.section	.bss,"aw",@nobits
	.globl	__hip_cuid_cf445b3f11a5183d
__hip_cuid_cf445b3f11a5183d:
	.byte	0                               ; 0x0
	.size	__hip_cuid_cf445b3f11a5183d, 1

	.ident	"AMD clang version 19.0.0git (https://github.com/RadeonOpenCompute/llvm-project roc-6.4.0 25133 c7fe45cf4b819c5991fe208aaa96edf142730f1d)"
	.section	".note.GNU-stack","",@progbits
	.addrsig
	.addrsig_sym __hip_cuid_cf445b3f11a5183d
	.amdgpu_metadata
---
amdhsa.kernels:
  - .args:
      - .actual_access:  read_only
        .address_space:  global
        .offset:         0
        .size:           8
        .value_kind:     global_buffer
      - .offset:         8
        .size:           8
        .value_kind:     by_value
      - .actual_access:  read_only
        .address_space:  global
        .offset:         16
        .size:           8
        .value_kind:     global_buffer
      - .actual_access:  read_only
        .address_space:  global
        .offset:         24
        .size:           8
        .value_kind:     global_buffer
      - .offset:         32
        .size:           8
        .value_kind:     by_value
      - .actual_access:  read_only
        .address_space:  global
        .offset:         40
        .size:           8
        .value_kind:     global_buffer
      - .actual_access:  read_only
        .address_space:  global
        .offset:         48
        .size:           8
        .value_kind:     global_buffer
      - .offset:         56
        .size:           4
        .value_kind:     by_value
      - .actual_access:  read_only
        .address_space:  global
        .offset:         64
        .size:           8
        .value_kind:     global_buffer
      - .actual_access:  read_only
        .address_space:  global
        .offset:         72
        .size:           8
        .value_kind:     global_buffer
      - .address_space:  global
        .offset:         80
        .size:           8
        .value_kind:     global_buffer
    .group_segment_fixed_size: 0
    .kernarg_segment_align: 8
    .kernarg_segment_size: 88
    .language:       OpenCL C
    .language_version:
      - 2
      - 0
    .max_flat_workgroup_size: 126
    .name:           fft_rtc_back_len135_factors_5_3_3_3_wgs_126_tpt_9_halfLds_sp_ip_CI_sbrr_dirReg
    .private_segment_fixed_size: 0
    .sgpr_count:     25
    .sgpr_spill_count: 0
    .symbol:         fft_rtc_back_len135_factors_5_3_3_3_wgs_126_tpt_9_halfLds_sp_ip_CI_sbrr_dirReg.kd
    .uniform_work_group_size: 1
    .uses_dynamic_stack: false
    .vgpr_count:     93
    .vgpr_spill_count: 0
    .wavefront_size: 32
    .workgroup_processor_mode: 1
amdhsa.target:   amdgcn-amd-amdhsa--gfx1030
amdhsa.version:
  - 1
  - 2
...

	.end_amdgpu_metadata
